;; amdgpu-corpus repo=ROCm/rocFFT kind=compiled arch=gfx1201 opt=O3
	.text
	.amdgcn_target "amdgcn-amd-amdhsa--gfx1201"
	.amdhsa_code_object_version 6
	.protected	fft_rtc_fwd_len42_factors_2_3_7_wgs_63_tpt_7_dim2_sp_ip_CI_sbrr_dirReg ; -- Begin function fft_rtc_fwd_len42_factors_2_3_7_wgs_63_tpt_7_dim2_sp_ip_CI_sbrr_dirReg
	.globl	fft_rtc_fwd_len42_factors_2_3_7_wgs_63_tpt_7_dim2_sp_ip_CI_sbrr_dirReg
	.p2align	8
	.type	fft_rtc_fwd_len42_factors_2_3_7_wgs_63_tpt_7_dim2_sp_ip_CI_sbrr_dirReg,@function
fft_rtc_fwd_len42_factors_2_3_7_wgs_63_tpt_7_dim2_sp_ip_CI_sbrr_dirReg: ; @fft_rtc_fwd_len42_factors_2_3_7_wgs_63_tpt_7_dim2_sp_ip_CI_sbrr_dirReg
; %bb.0:
	s_load_b128 s[8:11], s[0:1], 0x8
	v_mul_u32_u24_e32 v1, 0x2493, v0
	v_mov_b32_e32 v3, 0
	v_mov_b32_e32 v4, 0
	s_delay_alu instid0(VALU_DEP_3) | instskip(NEXT) | instid1(VALU_DEP_1)
	v_lshrrev_b32_e32 v1, 16, v1
	v_mad_co_u64_u32 v[1:2], null, ttmp9, 9, v[1:2]
	v_mov_b32_e32 v2, 0
	s_wait_kmcnt 0x0
	s_load_b64 s[2:3], s[8:9], 0x8
	s_load_b128 s[4:7], s[10:11], 0x0
	s_mov_b32 s8, exec_lo
	s_wait_kmcnt 0x0
	s_delay_alu instid0(VALU_DEP_2)
	v_cmpx_le_u64_e64 s[2:3], v[1:2]
	s_cbranch_execz .LBB0_2
; %bb.1:
	v_cvt_f32_u32_e32 v3, s2
	s_sub_co_i32 s9, 0, s2
	s_delay_alu instid0(VALU_DEP_1) | instskip(NEXT) | instid1(TRANS32_DEP_1)
	v_rcp_iflag_f32_e32 v3, v3
	v_mul_f32_e32 v3, 0x4f7ffffe, v3
	s_delay_alu instid0(VALU_DEP_1) | instskip(NEXT) | instid1(VALU_DEP_1)
	v_cvt_u32_f32_e32 v3, v3
	v_mul_lo_u32 v4, s9, v3
	s_delay_alu instid0(VALU_DEP_1) | instskip(NEXT) | instid1(VALU_DEP_1)
	v_mul_hi_u32 v4, v3, v4
	v_add_nc_u32_e32 v3, v3, v4
	s_delay_alu instid0(VALU_DEP_1) | instskip(NEXT) | instid1(VALU_DEP_1)
	v_mul_hi_u32 v3, v1, v3
	v_mul_lo_u32 v4, v3, s2
	v_add_nc_u32_e32 v5, 1, v3
	s_delay_alu instid0(VALU_DEP_2) | instskip(NEXT) | instid1(VALU_DEP_1)
	v_sub_nc_u32_e32 v4, v1, v4
	v_subrev_nc_u32_e32 v6, s2, v4
	v_cmp_le_u32_e32 vcc_lo, s2, v4
	s_delay_alu instid0(VALU_DEP_2) | instskip(NEXT) | instid1(VALU_DEP_1)
	v_dual_cndmask_b32 v4, v4, v6 :: v_dual_cndmask_b32 v3, v3, v5
	v_cmp_le_u32_e32 vcc_lo, s2, v4
	s_delay_alu instid0(VALU_DEP_2) | instskip(SKIP_1) | instid1(VALU_DEP_1)
	v_dual_mov_b32 v4, v2 :: v_dual_add_nc_u32 v5, 1, v3
	s_wait_alu 0xfffd
	v_cndmask_b32_e32 v3, v3, v5, vcc_lo
.LBB0_2:
	s_or_b32 exec_lo, exec_lo, s8
	s_delay_alu instid0(VALU_DEP_1) | instskip(SKIP_2) | instid1(VALU_DEP_1)
	v_mad_co_u64_u32 v[5:6], null, v3, s2, 0
	s_load_b64 s[8:9], s[10:11], 0x10
	s_load_b64 s[10:11], s[0:1], 0x18
	v_mov_b32_e32 v2, v6
	s_delay_alu instid0(VALU_DEP_2) | instskip(NEXT) | instid1(VALU_DEP_2)
	v_sub_co_u32 v5, vcc_lo, v1, v5
	v_mad_co_u64_u32 v[6:7], null, v3, s3, v[2:3]
	v_and_b32_e32 v7, 0xffff, v0
	s_delay_alu instid0(VALU_DEP_3) | instskip(SKIP_1) | instid1(VALU_DEP_2)
	v_mul_lo_u32 v8, s7, v5
	s_load_b64 s[2:3], s[0:1], 0x48
	v_mul_u32_u24_e32 v7, 0x2493, v7
	s_delay_alu instid0(VALU_DEP_4) | instskip(SKIP_1) | instid1(VALU_DEP_2)
	v_mov_b32_e32 v2, v6
	v_mad_co_u64_u32 v[5:6], null, s6, v5, 0
	v_sub_co_ci_u32_e32 v2, vcc_lo, 0, v2, vcc_lo
	s_delay_alu instid0(VALU_DEP_1) | instskip(SKIP_4) | instid1(VALU_DEP_3)
	v_mul_lo_u32 v2, s6, v2
	s_load_b64 s[6:7], s[0:1], 0x0
	s_wait_kmcnt 0x0
	v_cmp_gt_u64_e32 vcc_lo, s[10:11], v[3:4]
	v_cmp_le_u64_e64 s0, s[10:11], v[3:4]
	v_add3_u32 v6, v6, v2, v8
	v_lshrrev_b32_e32 v2, 16, v7
	s_delay_alu instid0(VALU_DEP_2) | instskip(NEXT) | instid1(VALU_DEP_2)
	v_mad_co_u64_u32 v[5:6], null, s8, v3, v[5:6]
	v_mul_lo_u16 v2, v2, 7
	s_delay_alu instid0(VALU_DEP_1) | instskip(NEXT) | instid1(VALU_DEP_3)
	v_sub_nc_u16 v2, v0, v2
	v_mov_b32_e32 v0, v6
	s_delay_alu instid0(VALU_DEP_2) | instskip(NEXT) | instid1(VALU_DEP_2)
	v_and_b32_e32 v16, 0xffff, v2
	v_mad_co_u64_u32 v[6:7], null, s9, v3, v[0:1]
                                        ; implicit-def: $sgpr8_sgpr9
	s_delay_alu instid0(VALU_DEP_2)
	v_add_nc_u32_e32 v17, 14, v16
	v_add_nc_u32_e32 v0, 7, v16
	s_and_saveexec_b32 s1, s0
	s_wait_alu 0xfffe
	s_xor_b32 s0, exec_lo, s1
; %bb.3:
	v_add_nc_u32_e32 v0, 7, v16
	v_add_nc_u32_e32 v17, 14, v16
	s_mov_b64 s[8:9], 0
; %bb.4:
	s_wait_alu 0xfffe
	s_or_saveexec_b32 s1, s0
	v_lshlrev_b64_e32 v[12:13], 3, v[5:6]
	v_dual_mov_b32 v2, s8 :: v_dual_mov_b32 v3, s9
	v_dual_mov_b32 v4, s8 :: v_dual_mov_b32 v5, s9
	v_dual_mov_b32 v6, s8 :: v_dual_mov_b32 v7, s9
                                        ; implicit-def: $vgpr15
                                        ; implicit-def: $vgpr9
                                        ; implicit-def: $vgpr11
	s_wait_alu 0xfffe
	s_xor_b32 exec_lo, exec_lo, s1
	s_cbranch_execz .LBB0_6
; %bb.5:
	v_add_nc_u32_e32 v11, 21, v16
	v_mad_co_u64_u32 v[2:3], null, s4, v16, 0
	v_mad_co_u64_u32 v[6:7], null, s4, v0, 0
	s_delay_alu instid0(VALU_DEP_3)
	v_mad_co_u64_u32 v[4:5], null, s4, v11, 0
	v_add_nc_u32_e32 v18, 28, v16
	v_add_co_u32 v23, s0, s2, v12
	s_wait_alu 0xf1ff
	v_add_co_ci_u32_e64 v24, s0, s3, v13, s0
	v_add_nc_u32_e32 v22, 35, v16
	v_mad_co_u64_u32 v[8:9], null, s5, v16, v[3:4]
	v_mov_b32_e32 v3, v5
	v_mad_co_u64_u32 v[9:10], null, s4, v18, 0
	v_mov_b32_e32 v5, v7
	s_delay_alu instid0(VALU_DEP_3) | instskip(SKIP_1) | instid1(VALU_DEP_3)
	v_mad_co_u64_u32 v[14:15], null, s5, v11, v[3:4]
	v_mov_b32_e32 v3, v8
	v_mad_co_u64_u32 v[7:8], null, s5, v0, v[5:6]
	v_mov_b32_e32 v8, v10
	s_delay_alu instid0(VALU_DEP_1) | instskip(SKIP_4) | instid1(VALU_DEP_2)
	v_mad_co_u64_u32 v[10:11], null, s5, v18, v[8:9]
	v_mad_co_u64_u32 v[18:19], null, s4, v22, 0
	v_mov_b32_e32 v5, v14
	v_mad_co_u64_u32 v[14:15], null, s4, v17, 0
	v_lshlrev_b64_e32 v[6:7], 3, v[6:7]
	v_mov_b32_e32 v8, v15
	v_lshlrev_b64_e32 v[2:3], 3, v[2:3]
	s_delay_alu instid0(VALU_DEP_2) | instskip(SKIP_2) | instid1(VALU_DEP_4)
	v_mad_co_u64_u32 v[20:21], null, s5, v17, v[8:9]
	v_mov_b32_e32 v8, v19
	v_lshlrev_b64_e32 v[4:5], 3, v[4:5]
	v_add_co_u32 v2, s0, v23, v2
	s_wait_alu 0xf1ff
	v_add_co_ci_u32_e64 v3, s0, v24, v3, s0
	v_mad_co_u64_u32 v[21:22], null, s5, v22, v[8:9]
	v_mov_b32_e32 v15, v20
	v_add_co_u32 v4, s0, v23, v4
	v_lshlrev_b64_e32 v[8:9], 3, v[9:10]
	s_wait_alu 0xf1ff
	v_add_co_ci_u32_e64 v5, s0, v24, v5, s0
	v_mov_b32_e32 v19, v21
	v_add_co_u32 v6, s0, v23, v6
	v_lshlrev_b64_e32 v[10:11], 3, v[14:15]
	s_wait_alu 0xf1ff
	v_add_co_ci_u32_e64 v7, s0, v24, v7, s0
	v_add_co_u32 v8, s0, v23, v8
	v_lshlrev_b64_e32 v[14:15], 3, v[18:19]
	s_wait_alu 0xf1ff
	v_add_co_ci_u32_e64 v9, s0, v24, v9, s0
	v_add_co_u32 v18, s0, v23, v10
	s_wait_alu 0xf1ff
	v_add_co_ci_u32_e64 v19, s0, v24, v11, s0
	v_add_co_u32 v20, s0, v23, v14
	s_wait_alu 0xf1ff
	v_add_co_ci_u32_e64 v21, s0, v24, v15, s0
	s_clause 0x5
	global_load_b64 v[2:3], v[2:3], off
	global_load_b64 v[14:15], v[4:5], off
	;; [unrolled: 1-line block ×6, first 2 shown]
.LBB0_6:
	s_or_b32 exec_lo, exec_lo, s1
	v_mul_hi_u32 v18, 0x38e38e39, v1
	s_wait_loadcnt 0x4
	v_dual_sub_f32 v14, v2, v14 :: v_dual_sub_f32 v15, v3, v15
	s_wait_loadcnt 0x2
	v_dual_sub_f32 v10, v4, v10 :: v_dual_sub_f32 v11, v5, v11
	;; [unrolled: 2-line block ×3, first 2 shown]
	v_and_b32_e32 v26, 1, v16
	v_lshrrev_b32_e32 v18, 1, v18
	v_and_b32_e32 v27, 1, v0
	v_cmp_gt_u16_e64 s0, 6, v16
	s_delay_alu instid0(VALU_DEP_3) | instskip(NEXT) | instid1(VALU_DEP_3)
	v_lshl_add_u32 v18, v18, 3, v18
	v_lshlrev_b32_e32 v19, 4, v27
	s_delay_alu instid0(VALU_DEP_2) | instskip(NEXT) | instid1(VALU_DEP_1)
	v_sub_nc_u32_e32 v1, v1, v18
	v_mul_u32_u24_e32 v18, 42, v1
	v_fma_f32 v1, v2, 2.0, -v14
	v_fma_f32 v2, v3, 2.0, -v15
	;; [unrolled: 1-line block ×4, first 2 shown]
	v_lshl_add_u32 v28, v18, 3, 0
	v_fma_f32 v5, v6, 2.0, -v8
	v_fma_f32 v6, v7, 2.0, -v9
	v_lshlrev_b32_e32 v18, 4, v26
	s_delay_alu instid0(VALU_DEP_4)
	v_lshl_add_u32 v7, v16, 4, v28
	v_lshl_add_u32 v22, v0, 4, v28
	;; [unrolled: 1-line block ×3, first 2 shown]
	ds_store_2addr_b64 v7, v[1:2], v[14:15] offset1:1
	ds_store_2addr_b64 v22, v[3:4], v[10:11] offset1:1
	;; [unrolled: 1-line block ×3, first 2 shown]
	global_wb scope:SCOPE_SE
	s_wait_dscnt 0x0
	s_barrier_signal -1
	s_barrier_wait -1
	global_inv scope:SCOPE_SE
	s_clause 0x1
	global_load_b128 v[8:11], v18, s[6:7]
	global_load_b128 v[18:21], v19, s[6:7]
	v_lshlrev_b32_e32 v1, 3, v17
	v_lshlrev_b32_e32 v2, 3, v16
	;; [unrolled: 1-line block ×3, first 2 shown]
	v_lshrrev_b32_e32 v5, 1, v0
	v_lshrrev_b32_e32 v4, 1, v16
	v_sub_nc_u32_e32 v1, v23, v1
	v_sub_nc_u32_e32 v6, v7, v2
	v_sub_nc_u32_e32 v3, v22, v3
	ds_load_b64 v[0:1], v1
	ds_load_2addr_b64 v[22:25], v6 offset0:21 offset1:28
	v_mul_lo_u32 v17, v5, 6
	v_mul_u32_u24_e32 v29, 6, v4
	ds_load_b64 v[4:5], v3
	ds_load_b64 v[14:15], v6 offset:280
	v_or_b32_e32 v17, v17, v27
	s_delay_alu instid0(VALU_DEP_1)
	v_lshl_add_u32 v17, v17, 3, v28
	s_wait_loadcnt_dscnt 0x103
	v_mul_f32_e32 v27, v9, v1
	v_mul_f32_e32 v9, v9, v0
	v_or_b32_e32 v26, v29, v26
	s_wait_loadcnt_dscnt 0x2
	v_mul_f32_e32 v29, v19, v23
	s_wait_dscnt 0x0
	v_mul_f32_e32 v30, v21, v15
	v_fma_f32 v0, v8, v0, -v27
	v_fmac_f32_e32 v9, v8, v1
	v_add_nc_u32_e32 v7, v28, v2
	v_lshl_add_u32 v26, v26, 3, v28
	v_mul_f32_e32 v28, v11, v25
	v_fma_f32 v8, v18, v22, -v29
	v_mul_f32_e32 v19, v19, v22
	ds_load_b64 v[2:3], v7
	global_wb scope:SCOPE_SE
	s_wait_dscnt 0x0
	v_fma_f32 v1, v10, v24, -v28
	v_mul_f32_e32 v11, v11, v24
	v_mul_f32_e32 v21, v21, v14
	s_barrier_signal -1
	s_barrier_wait -1
	v_sub_f32_e32 v22, v0, v1
	v_fmac_f32_e32 v11, v10, v25
	v_fma_f32 v10, v20, v14, -v30
	global_inv scope:SCOPE_SE
	v_dual_sub_f32 v27, v8, v10 :: v_dual_add_f32 v14, v2, v0
	s_delay_alu instid0(VALU_DEP_1) | instskip(SKIP_2) | instid1(VALU_DEP_2)
	v_dual_add_f32 v14, v14, v1 :: v_dual_fmac_f32 v21, v20, v15
	v_add_f32_e32 v15, v0, v1
	v_add_f32_e32 v0, v4, v8
	v_fma_f32 v2, -0.5, v15, v2
	v_fmac_f32_e32 v19, v18, v23
	v_add_f32_e32 v23, v8, v10
	s_delay_alu instid0(VALU_DEP_4) | instskip(SKIP_1) | instid1(VALU_DEP_3)
	v_add_f32_e32 v8, v0, v10
	v_sub_f32_e32 v18, v9, v11
	v_fma_f32 v4, -0.5, v23, v4
	s_delay_alu instid0(VALU_DEP_2) | instskip(SKIP_3) | instid1(VALU_DEP_2)
	v_fmamk_f32 v0, v18, 0x3f5db3d7, v2
	v_fmac_f32_e32 v2, 0xbf5db3d7, v18
	v_dual_add_f32 v20, v3, v9 :: v_dual_add_f32 v9, v9, v11
	v_dual_sub_f32 v24, v19, v21 :: v_dual_add_f32 v25, v5, v19
	v_add_f32_e32 v15, v20, v11
	s_delay_alu instid0(VALU_DEP_2) | instskip(SKIP_1) | instid1(VALU_DEP_4)
	v_dual_fmac_f32 v3, -0.5, v9 :: v_dual_fmamk_f32 v10, v24, 0x3f5db3d7, v4
	v_dual_fmac_f32 v4, 0xbf5db3d7, v24 :: v_dual_add_f32 v19, v19, v21
	v_add_f32_e32 v9, v25, v21
	s_delay_alu instid0(VALU_DEP_3) | instskip(SKIP_1) | instid1(VALU_DEP_4)
	v_fmamk_f32 v1, v22, 0xbf5db3d7, v3
	v_fmac_f32_e32 v3, 0x3f5db3d7, v22
	v_fmac_f32_e32 v5, -0.5, v19
	s_delay_alu instid0(VALU_DEP_1)
	v_fmamk_f32 v11, v27, 0xbf5db3d7, v5
	v_fmac_f32_e32 v5, 0x3f5db3d7, v27
	ds_store_2addr_b64 v26, v[14:15], v[0:1] offset1:2
	ds_store_b64 v26, v[2:3] offset:32
	ds_store_2addr_b64 v17, v[8:9], v[10:11] offset1:2
	ds_store_b64 v17, v[4:5] offset:32
	global_wb scope:SCOPE_SE
	s_wait_dscnt 0x0
	s_barrier_signal -1
	s_barrier_wait -1
	global_inv scope:SCOPE_SE
	s_and_saveexec_b32 s1, s0
	s_cbranch_execnz .LBB0_9
; %bb.7:
	s_wait_alu 0xfffe
	s_or_b32 exec_lo, exec_lo, s1
	s_and_b32 s0, vcc_lo, s0
	s_wait_alu 0xfffe
	s_and_saveexec_b32 s1, s0
	s_cbranch_execnz .LBB0_10
.LBB0_8:
	s_endpgm
.LBB0_9:
	ds_load_b64 v[14:15], v7
	ds_load_2addr_b64 v[0:3], v6 offset0:6 offset1:12
	ds_load_2addr_b64 v[8:11], v6 offset0:18 offset1:24
	;; [unrolled: 1-line block ×3, first 2 shown]
	s_wait_alu 0xfffe
	s_or_b32 exec_lo, exec_lo, s1
	s_and_b32 s0, vcc_lo, s0
	s_wait_alu 0xfffe
	s_and_saveexec_b32 s1, s0
	s_cbranch_execz .LBB0_8
.LBB0_10:
	v_add_nc_u32_e32 v46, 12, v16
	v_mul_u32_u24_e32 v17, 6, v16
	v_mad_co_u64_u32 v[29:30], null, s4, v16, 0
	v_or_b32_e32 v48, 24, v16
	s_delay_alu instid0(VALU_DEP_4) | instskip(SKIP_4) | instid1(VALU_DEP_4)
	v_mad_co_u64_u32 v[33:34], null, s4, v46, 0
	v_add_nc_u32_e32 v45, 6, v16
	v_add_nc_u32_e32 v47, 18, v16
	;; [unrolled: 1-line block ×3, first 2 shown]
	v_mad_co_u64_u32 v[37:38], null, s4, v48, 0
	v_mad_co_u64_u32 v[31:32], null, s4, v45, 0
	v_lshlrev_b32_e32 v25, 3, v17
	v_add_nc_u32_e32 v49, 30, v16
	v_mad_co_u64_u32 v[35:36], null, s4, v47, 0
	s_delay_alu instid0(VALU_DEP_4)
	v_mad_co_u64_u32 v[43:44], null, s5, v16, v[30:31]
	v_mov_b32_e32 v16, v32
	s_clause 0x2
	global_load_b128 v[17:20], v25, s[6:7] offset:32
	global_load_b128 v[21:24], v25, s[6:7] offset:64
	;; [unrolled: 1-line block ×3, first 2 shown]
	v_mov_b32_e32 v30, v34
	v_mov_b32_e32 v34, v38
	;; [unrolled: 1-line block ×3, first 2 shown]
	v_mad_co_u64_u32 v[39:40], null, s4, v49, 0
	s_delay_alu instid0(VALU_DEP_1)
	v_mov_b32_e32 v36, v40
	s_wait_loadcnt 0x2
	v_mad_co_u64_u32 v[44:45], null, s5, v45, v[16:17]
	v_mad_co_u64_u32 v[45:46], null, s5, v46, v[30:31]
	;; [unrolled: 1-line block ×4, first 2 shown]
	v_mov_b32_e32 v30, v43
	v_add_co_u32 v16, vcc_lo, s2, v12
	v_mov_b32_e32 v34, v45
	s_wait_loadcnt_dscnt 0x100
	v_mul_f32_e32 v45, v5, v22
	v_mad_co_u64_u32 v[41:42], null, s4, v50, 0
	v_mul_f32_e32 v22, v4, v22
	s_wait_alu 0xfffd
	v_add_co_ci_u32_e32 v43, vcc_lo, s3, v13, vcc_lo
	v_fma_f32 v4, v4, v21, -v45
	v_mov_b32_e32 v32, v44
	v_mul_f32_e32 v44, v3, v20
	v_mul_f32_e32 v20, v2, v20
	v_mov_b32_e32 v38, v42
	v_lshlrev_b64_e32 v[12:13], 3, v[29:30]
	v_mad_co_u64_u32 v[48:49], null, s5, v49, v[36:37]
	v_fma_f32 v2, v2, v19, -v44
	v_fmac_f32_e32 v22, v5, v21
	v_mov_b32_e32 v36, v46
	v_mad_co_u64_u32 v[49:50], null, s5, v50, v[38:39]
	s_delay_alu instid0(VALU_DEP_4)
	v_sub_f32_e32 v5, v2, v4
	v_lshlrev_b64_e32 v[29:30], 3, v[31:32]
	v_lshlrev_b64_e32 v[31:32], 3, v[33:34]
	v_add_co_u32 v12, vcc_lo, v16, v12
	v_fmac_f32_e32 v20, v3, v19
	v_mov_b32_e32 v38, v47
	s_wait_alu 0xfffd
	v_add_co_ci_u32_e32 v13, vcc_lo, v43, v13, vcc_lo
	v_lshlrev_b64_e32 v[33:34], 3, v[35:36]
	v_add_co_u32 v29, vcc_lo, v16, v29
	v_mov_b32_e32 v40, v48
	s_wait_alu 0xfffd
	v_add_co_ci_u32_e32 v30, vcc_lo, v43, v30, vcc_lo
	v_lshlrev_b64_e32 v[35:36], 3, v[37:38]
	v_add_co_u32 v31, vcc_lo, v16, v31
	;; [unrolled: 5-line block ×3, first 2 shown]
	s_wait_alu 0xfffd
	v_add_co_ci_u32_e32 v34, vcc_lo, v43, v34, vcc_lo
	v_lshlrev_b64_e32 v[39:40], 3, v[41:42]
	v_add_co_u32 v35, vcc_lo, v16, v35
	s_wait_alu 0xfffd
	v_add_co_ci_u32_e32 v36, vcc_lo, v43, v36, vcc_lo
	v_add_co_u32 v37, vcc_lo, v16, v37
	s_wait_alu 0xfffd
	v_add_co_ci_u32_e32 v38, vcc_lo, v43, v38, vcc_lo
	;; [unrolled: 3-line block ×3, first 2 shown]
	s_wait_loadcnt 0x0
	v_dual_mul_f32 v42, v11, v28 :: v_dual_mul_f32 v43, v9, v26
	v_mul_f32_e32 v26, v8, v26
	v_mul_f32_e32 v28, v10, v28
	;; [unrolled: 1-line block ×3, first 2 shown]
	v_add_f32_e32 v2, v2, v4
	v_mul_f32_e32 v24, v6, v24
	v_fmac_f32_e32 v26, v9, v25
	v_dual_fmac_f32 v28, v11, v27 :: v_dual_add_f32 v11, v20, v22
	v_mul_f32_e32 v16, v1, v18
	v_mul_f32_e32 v18, v0, v18
	v_fma_f32 v6, v6, v23, -v41
	s_delay_alu instid0(VALU_DEP_4) | instskip(SKIP_3) | instid1(VALU_DEP_4)
	v_add_f32_e32 v9, v28, v26
	v_fma_f32 v8, v8, v25, -v43
	v_fma_f32 v0, v0, v17, -v16
	v_fmac_f32_e32 v24, v7, v23
	v_sub_f32_e32 v19, v9, v11
	v_fma_f32 v10, v10, v27, -v42
	s_delay_alu instid0(VALU_DEP_4) | instskip(NEXT) | instid1(VALU_DEP_3)
	v_dual_fmac_f32 v18, v1, v17 :: v_dual_sub_f32 v1, v0, v6
	v_dual_add_f32 v0, v0, v6 :: v_dual_mul_f32 v19, 0x3d64c772, v19
	s_delay_alu instid0(VALU_DEP_3) | instskip(SKIP_1) | instid1(VALU_DEP_4)
	v_sub_f32_e32 v3, v10, v8
	v_add_f32_e32 v6, v10, v8
	v_sub_f32_e32 v4, v18, v24
	v_sub_f32_e32 v8, v28, v26
	v_dual_sub_f32 v10, v20, v22 :: v_dual_add_f32 v7, v18, v24
	v_dual_sub_f32 v16, v1, v3 :: v_dual_sub_f32 v17, v3, v5
	s_delay_alu instid0(VALU_DEP_3) | instskip(NEXT) | instid1(VALU_DEP_3)
	v_dual_add_f32 v3, v3, v5 :: v_dual_sub_f32 v24, v4, v8
	v_sub_f32_e32 v25, v8, v10
	v_dual_add_f32 v8, v8, v10 :: v_dual_sub_f32 v5, v5, v1
	v_sub_f32_e32 v10, v10, v4
	v_add_f32_e32 v20, v7, v11
	s_delay_alu instid0(VALU_DEP_3) | instskip(NEXT) | instid1(VALU_DEP_4)
	v_dual_add_f32 v3, v1, v3 :: v_dual_add_f32 v4, v4, v8
	v_mul_f32_e32 v8, 0x3f5ff5aa, v5
	s_delay_alu instid0(VALU_DEP_1) | instskip(NEXT) | instid1(VALU_DEP_1)
	v_fma_f32 v8, 0xbeae86e6, v16, -v8
	v_fmac_f32_e32 v8, 0x3ee1c552, v3
	v_dual_sub_f32 v18, v7, v9 :: v_dual_add_f32 v9, v9, v20
	v_sub_f32_e32 v7, v11, v7
	v_mul_f32_e32 v11, 0xbf08b237, v17
	s_delay_alu instid0(VALU_DEP_3) | instskip(NEXT) | instid1(VALU_DEP_4)
	v_mul_f32_e32 v17, 0x3f4a47b2, v18
	v_add_f32_e32 v1, v15, v9
	v_sub_f32_e32 v21, v0, v6
	s_delay_alu instid0(VALU_DEP_4)
	v_fmamk_f32 v26, v16, 0x3eae86e6, v11
	v_fma_f32 v11, 0x3f5ff5aa, v5, -v11
	v_fma_f32 v16, 0xbf3bfb3b, v7, -v17
	;; [unrolled: 1-line block ×3, first 2 shown]
	v_fmamk_f32 v5, v9, 0xbf955555, v1
	v_mul_f32_e32 v20, 0x3f4a47b2, v21
	v_fmac_f32_e32 v11, 0x3ee1c552, v3
	s_delay_alu instid0(VALU_DEP_3) | instskip(SKIP_2) | instid1(VALU_DEP_3)
	v_dual_fmac_f32 v26, 0x3ee1c552, v3 :: v_dual_add_f32 v9, v16, v5
	v_dual_add_f32 v7, v7, v5 :: v_dual_sub_f32 v22, v6, v2
	v_dual_add_f32 v23, v0, v2 :: v_dual_sub_f32 v2, v2, v0
	v_add_f32_e32 v3, v8, v9
	s_delay_alu instid0(VALU_DEP_3) | instskip(SKIP_1) | instid1(VALU_DEP_4)
	v_dual_sub_f32 v9, v9, v8 :: v_dual_mul_f32 v22, 0x3d64c772, v22
	v_fmamk_f32 v18, v18, 0x3f4a47b2, v19
	v_fma_f32 v17, 0xbf3bfb3b, v2, -v20
	s_delay_alu instid0(VALU_DEP_3) | instskip(SKIP_3) | instid1(VALU_DEP_4)
	v_dual_fmamk_f32 v15, v21, 0x3f4a47b2, v22 :: v_dual_add_f32 v6, v6, v23
	v_mul_f32_e32 v23, 0xbf08b237, v25
	v_mul_f32_e32 v25, 0x3f5ff5aa, v10
	v_fma_f32 v2, 0x3f3bfb3b, v2, -v22
	v_add_f32_e32 v0, v14, v6
	s_delay_alu instid0(VALU_DEP_4) | instskip(NEXT) | instid1(VALU_DEP_4)
	v_fmamk_f32 v14, v24, 0x3eae86e6, v23
	v_fma_f32 v20, 0xbeae86e6, v24, -v25
	v_fma_f32 v19, 0x3f5ff5aa, v10, -v23
	s_delay_alu instid0(VALU_DEP_4) | instskip(NEXT) | instid1(VALU_DEP_4)
	v_fmamk_f32 v6, v6, 0xbf955555, v0
	v_fmac_f32_e32 v14, 0x3ee1c552, v4
	s_delay_alu instid0(VALU_DEP_4) | instskip(NEXT) | instid1(VALU_DEP_4)
	v_fmac_f32_e32 v20, 0x3ee1c552, v4
	v_dual_fmac_f32 v19, 0x3ee1c552, v4 :: v_dual_add_f32 v4, v18, v5
	v_sub_f32_e32 v5, v7, v11
	v_add_f32_e32 v10, v15, v6
	global_store_b64 v[12:13], v[0:1], off
	v_add_f32_e32 v12, v17, v6
	v_dual_add_f32 v2, v2, v6 :: v_dual_add_f32 v7, v11, v7
	v_sub_f32_e32 v0, v10, v14
	v_sub_f32_e32 v11, v4, v26
	v_add_f32_e32 v10, v14, v10
	v_add_f32_e32 v8, v20, v12
	v_sub_f32_e32 v6, v2, v19
	v_dual_add_f32 v1, v26, v4 :: v_dual_add_f32 v4, v19, v2
	v_sub_f32_e32 v2, v12, v20
	s_clause 0x5
	global_store_b64 v[29:30], v[10:11], off
	global_store_b64 v[31:32], v[8:9], off
	;; [unrolled: 1-line block ×6, first 2 shown]
	s_nop 0
	s_sendmsg sendmsg(MSG_DEALLOC_VGPRS)
	s_endpgm
	.section	.rodata,"a",@progbits
	.p2align	6, 0x0
	.amdhsa_kernel fft_rtc_fwd_len42_factors_2_3_7_wgs_63_tpt_7_dim2_sp_ip_CI_sbrr_dirReg
		.amdhsa_group_segment_fixed_size 0
		.amdhsa_private_segment_fixed_size 0
		.amdhsa_kernarg_size 80
		.amdhsa_user_sgpr_count 2
		.amdhsa_user_sgpr_dispatch_ptr 0
		.amdhsa_user_sgpr_queue_ptr 0
		.amdhsa_user_sgpr_kernarg_segment_ptr 1
		.amdhsa_user_sgpr_dispatch_id 0
		.amdhsa_user_sgpr_private_segment_size 0
		.amdhsa_wavefront_size32 1
		.amdhsa_uses_dynamic_stack 0
		.amdhsa_enable_private_segment 0
		.amdhsa_system_sgpr_workgroup_id_x 1
		.amdhsa_system_sgpr_workgroup_id_y 0
		.amdhsa_system_sgpr_workgroup_id_z 0
		.amdhsa_system_sgpr_workgroup_info 0
		.amdhsa_system_vgpr_workitem_id 0
		.amdhsa_next_free_vgpr 51
		.amdhsa_next_free_sgpr 12
		.amdhsa_reserve_vcc 1
		.amdhsa_float_round_mode_32 0
		.amdhsa_float_round_mode_16_64 0
		.amdhsa_float_denorm_mode_32 3
		.amdhsa_float_denorm_mode_16_64 3
		.amdhsa_fp16_overflow 0
		.amdhsa_workgroup_processor_mode 1
		.amdhsa_memory_ordered 1
		.amdhsa_forward_progress 0
		.amdhsa_round_robin_scheduling 0
		.amdhsa_exception_fp_ieee_invalid_op 0
		.amdhsa_exception_fp_denorm_src 0
		.amdhsa_exception_fp_ieee_div_zero 0
		.amdhsa_exception_fp_ieee_overflow 0
		.amdhsa_exception_fp_ieee_underflow 0
		.amdhsa_exception_fp_ieee_inexact 0
		.amdhsa_exception_int_div_zero 0
	.end_amdhsa_kernel
	.text
.Lfunc_end0:
	.size	fft_rtc_fwd_len42_factors_2_3_7_wgs_63_tpt_7_dim2_sp_ip_CI_sbrr_dirReg, .Lfunc_end0-fft_rtc_fwd_len42_factors_2_3_7_wgs_63_tpt_7_dim2_sp_ip_CI_sbrr_dirReg
                                        ; -- End function
	.section	.AMDGPU.csdata,"",@progbits
; Kernel info:
; codeLenInByte = 2936
; NumSgprs: 14
; NumVgprs: 51
; ScratchSize: 0
; MemoryBound: 0
; FloatMode: 240
; IeeeMode: 1
; LDSByteSize: 0 bytes/workgroup (compile time only)
; SGPRBlocks: 1
; VGPRBlocks: 6
; NumSGPRsForWavesPerEU: 14
; NumVGPRsForWavesPerEU: 51
; Occupancy: 16
; WaveLimiterHint : 1
; COMPUTE_PGM_RSRC2:SCRATCH_EN: 0
; COMPUTE_PGM_RSRC2:USER_SGPR: 2
; COMPUTE_PGM_RSRC2:TRAP_HANDLER: 0
; COMPUTE_PGM_RSRC2:TGID_X_EN: 1
; COMPUTE_PGM_RSRC2:TGID_Y_EN: 0
; COMPUTE_PGM_RSRC2:TGID_Z_EN: 0
; COMPUTE_PGM_RSRC2:TIDIG_COMP_CNT: 0
	.text
	.p2alignl 7, 3214868480
	.fill 96, 4, 3214868480
	.type	__hip_cuid_88ef09545ed710ac,@object ; @__hip_cuid_88ef09545ed710ac
	.section	.bss,"aw",@nobits
	.globl	__hip_cuid_88ef09545ed710ac
__hip_cuid_88ef09545ed710ac:
	.byte	0                               ; 0x0
	.size	__hip_cuid_88ef09545ed710ac, 1

	.ident	"AMD clang version 19.0.0git (https://github.com/RadeonOpenCompute/llvm-project roc-6.4.0 25133 c7fe45cf4b819c5991fe208aaa96edf142730f1d)"
	.section	".note.GNU-stack","",@progbits
	.addrsig
	.addrsig_sym __hip_cuid_88ef09545ed710ac
	.amdgpu_metadata
---
amdhsa.kernels:
  - .args:
      - .actual_access:  read_only
        .address_space:  global
        .offset:         0
        .size:           8
        .value_kind:     global_buffer
      - .actual_access:  read_only
        .address_space:  global
        .offset:         8
        .size:           8
        .value_kind:     global_buffer
      - .actual_access:  read_only
        .address_space:  global
        .offset:         16
        .size:           8
        .value_kind:     global_buffer
      - .offset:         24
        .size:           8
        .value_kind:     by_value
      - .actual_access:  read_only
        .address_space:  global
        .offset:         32
        .size:           8
        .value_kind:     global_buffer
      - .actual_access:  read_only
        .address_space:  global
        .offset:         40
        .size:           8
        .value_kind:     global_buffer
      - .offset:         48
        .size:           4
        .value_kind:     by_value
      - .actual_access:  read_only
        .address_space:  global
        .offset:         56
        .size:           8
        .value_kind:     global_buffer
      - .actual_access:  read_only
        .address_space:  global
        .offset:         64
        .size:           8
        .value_kind:     global_buffer
      - .address_space:  global
        .offset:         72
        .size:           8
        .value_kind:     global_buffer
    .group_segment_fixed_size: 0
    .kernarg_segment_align: 8
    .kernarg_segment_size: 80
    .language:       OpenCL C
    .language_version:
      - 2
      - 0
    .max_flat_workgroup_size: 63
    .name:           fft_rtc_fwd_len42_factors_2_3_7_wgs_63_tpt_7_dim2_sp_ip_CI_sbrr_dirReg
    .private_segment_fixed_size: 0
    .sgpr_count:     14
    .sgpr_spill_count: 0
    .symbol:         fft_rtc_fwd_len42_factors_2_3_7_wgs_63_tpt_7_dim2_sp_ip_CI_sbrr_dirReg.kd
    .uniform_work_group_size: 1
    .uses_dynamic_stack: false
    .vgpr_count:     51
    .vgpr_spill_count: 0
    .wavefront_size: 32
    .workgroup_processor_mode: 1
amdhsa.target:   amdgcn-amd-amdhsa--gfx1201
amdhsa.version:
  - 1
  - 2
...

	.end_amdgpu_metadata
